;; amdgpu-corpus repo=ROCm/rocFFT kind=compiled arch=gfx906 opt=O3
	.text
	.amdgcn_target "amdgcn-amd-amdhsa--gfx906"
	.amdhsa_code_object_version 6
	.protected	fft_rtc_fwd_len44_factors_11_4_wgs_64_tpt_4_halfLds_half_ip_CI_unitstride_sbrr_R2C_dirReg ; -- Begin function fft_rtc_fwd_len44_factors_11_4_wgs_64_tpt_4_halfLds_half_ip_CI_unitstride_sbrr_R2C_dirReg
	.globl	fft_rtc_fwd_len44_factors_11_4_wgs_64_tpt_4_halfLds_half_ip_CI_unitstride_sbrr_R2C_dirReg
	.p2align	8
	.type	fft_rtc_fwd_len44_factors_11_4_wgs_64_tpt_4_halfLds_half_ip_CI_unitstride_sbrr_R2C_dirReg,@function
fft_rtc_fwd_len44_factors_11_4_wgs_64_tpt_4_halfLds_half_ip_CI_unitstride_sbrr_R2C_dirReg: ; @fft_rtc_fwd_len44_factors_11_4_wgs_64_tpt_4_halfLds_half_ip_CI_unitstride_sbrr_R2C_dirReg
; %bb.0:
	s_load_dwordx2 s[12:13], s[4:5], 0x50
	s_load_dwordx4 s[8:11], s[4:5], 0x0
	s_load_dwordx2 s[2:3], s[4:5], 0x18
	v_lshrrev_b32_e32 v11, 2, v0
	v_mov_b32_e32 v3, 0
	v_mov_b32_e32 v1, 0
	s_waitcnt lgkmcnt(0)
	v_cmp_lt_u64_e64 s[0:1], s[10:11], 2
	v_lshl_or_b32 v5, s6, 4, v11
	v_mov_b32_e32 v6, v3
	s_and_b64 vcc, exec, s[0:1]
	v_mov_b32_e32 v2, 0
	s_cbranch_vccnz .LBB0_8
; %bb.1:
	s_load_dwordx2 s[0:1], s[4:5], 0x10
	s_add_u32 s6, s2, 8
	s_addc_u32 s7, s3, 0
	v_mov_b32_e32 v1, 0
	v_mov_b32_e32 v2, 0
	s_waitcnt lgkmcnt(0)
	s_add_u32 s14, s0, 8
	s_addc_u32 s15, s1, 0
	s_mov_b64 s[16:17], 1
.LBB0_2:                                ; =>This Inner Loop Header: Depth=1
	s_load_dwordx2 s[18:19], s[14:15], 0x0
                                        ; implicit-def: $vgpr7_vgpr8
	s_waitcnt lgkmcnt(0)
	v_or_b32_e32 v4, s19, v6
	v_cmp_ne_u64_e32 vcc, 0, v[3:4]
	s_and_saveexec_b64 s[0:1], vcc
	s_xor_b64 s[20:21], exec, s[0:1]
	s_cbranch_execz .LBB0_4
; %bb.3:                                ;   in Loop: Header=BB0_2 Depth=1
	v_cvt_f32_u32_e32 v4, s18
	v_cvt_f32_u32_e32 v7, s19
	s_sub_u32 s0, 0, s18
	s_subb_u32 s1, 0, s19
	v_mac_f32_e32 v4, 0x4f800000, v7
	v_rcp_f32_e32 v4, v4
	v_mul_f32_e32 v4, 0x5f7ffffc, v4
	v_mul_f32_e32 v7, 0x2f800000, v4
	v_trunc_f32_e32 v7, v7
	v_mac_f32_e32 v4, 0xcf800000, v7
	v_cvt_u32_f32_e32 v7, v7
	v_cvt_u32_f32_e32 v4, v4
	v_mul_lo_u32 v8, s0, v7
	v_mul_hi_u32 v9, s0, v4
	v_mul_lo_u32 v12, s1, v4
	v_mul_lo_u32 v10, s0, v4
	v_add_u32_e32 v8, v9, v8
	v_add_u32_e32 v8, v8, v12
	v_mul_hi_u32 v9, v4, v10
	v_mul_lo_u32 v12, v4, v8
	v_mul_hi_u32 v14, v4, v8
	v_mul_hi_u32 v13, v7, v10
	v_mul_lo_u32 v10, v7, v10
	v_mul_hi_u32 v15, v7, v8
	v_add_co_u32_e32 v9, vcc, v9, v12
	v_addc_co_u32_e32 v12, vcc, 0, v14, vcc
	v_mul_lo_u32 v8, v7, v8
	v_add_co_u32_e32 v9, vcc, v9, v10
	v_addc_co_u32_e32 v9, vcc, v12, v13, vcc
	v_addc_co_u32_e32 v10, vcc, 0, v15, vcc
	v_add_co_u32_e32 v8, vcc, v9, v8
	v_addc_co_u32_e32 v9, vcc, 0, v10, vcc
	v_add_co_u32_e32 v4, vcc, v4, v8
	v_addc_co_u32_e32 v7, vcc, v7, v9, vcc
	v_mul_lo_u32 v8, s0, v7
	v_mul_hi_u32 v9, s0, v4
	v_mul_lo_u32 v10, s1, v4
	v_mul_lo_u32 v12, s0, v4
	v_add_u32_e32 v8, v9, v8
	v_add_u32_e32 v8, v8, v10
	v_mul_lo_u32 v13, v4, v8
	v_mul_hi_u32 v14, v4, v12
	v_mul_hi_u32 v15, v4, v8
	;; [unrolled: 1-line block ×3, first 2 shown]
	v_mul_lo_u32 v12, v7, v12
	v_mul_hi_u32 v9, v7, v8
	v_add_co_u32_e32 v13, vcc, v14, v13
	v_addc_co_u32_e32 v14, vcc, 0, v15, vcc
	v_mul_lo_u32 v8, v7, v8
	v_add_co_u32_e32 v12, vcc, v13, v12
	v_addc_co_u32_e32 v10, vcc, v14, v10, vcc
	v_addc_co_u32_e32 v9, vcc, 0, v9, vcc
	v_add_co_u32_e32 v8, vcc, v10, v8
	v_addc_co_u32_e32 v9, vcc, 0, v9, vcc
	v_add_co_u32_e32 v4, vcc, v4, v8
	v_addc_co_u32_e32 v9, vcc, v7, v9, vcc
	v_mad_u64_u32 v[7:8], s[0:1], v5, v9, 0
	v_mul_hi_u32 v10, v5, v4
	v_add_co_u32_e32 v12, vcc, v10, v7
	v_addc_co_u32_e32 v13, vcc, 0, v8, vcc
	v_mad_u64_u32 v[7:8], s[0:1], v6, v4, 0
	v_mad_u64_u32 v[9:10], s[0:1], v6, v9, 0
	v_add_co_u32_e32 v4, vcc, v12, v7
	v_addc_co_u32_e32 v4, vcc, v13, v8, vcc
	v_addc_co_u32_e32 v7, vcc, 0, v10, vcc
	v_add_co_u32_e32 v4, vcc, v4, v9
	v_addc_co_u32_e32 v9, vcc, 0, v7, vcc
	v_mul_lo_u32 v10, s19, v4
	v_mul_lo_u32 v12, s18, v9
	v_mad_u64_u32 v[7:8], s[0:1], s18, v4, 0
	v_add3_u32 v8, v8, v12, v10
	v_sub_u32_e32 v10, v6, v8
	v_mov_b32_e32 v12, s19
	v_sub_co_u32_e32 v7, vcc, v5, v7
	v_subb_co_u32_e64 v10, s[0:1], v10, v12, vcc
	v_subrev_co_u32_e64 v12, s[0:1], s18, v7
	v_subbrev_co_u32_e64 v10, s[0:1], 0, v10, s[0:1]
	v_cmp_le_u32_e64 s[0:1], s19, v10
	v_cndmask_b32_e64 v13, 0, -1, s[0:1]
	v_cmp_le_u32_e64 s[0:1], s18, v12
	v_cndmask_b32_e64 v12, 0, -1, s[0:1]
	v_cmp_eq_u32_e64 s[0:1], s19, v10
	v_cndmask_b32_e64 v10, v13, v12, s[0:1]
	v_add_co_u32_e64 v12, s[0:1], 2, v4
	v_addc_co_u32_e64 v13, s[0:1], 0, v9, s[0:1]
	v_add_co_u32_e64 v14, s[0:1], 1, v4
	v_addc_co_u32_e64 v15, s[0:1], 0, v9, s[0:1]
	v_subb_co_u32_e32 v8, vcc, v6, v8, vcc
	v_cmp_ne_u32_e64 s[0:1], 0, v10
	v_cmp_le_u32_e32 vcc, s19, v8
	v_cndmask_b32_e64 v10, v15, v13, s[0:1]
	v_cndmask_b32_e64 v13, 0, -1, vcc
	v_cmp_le_u32_e32 vcc, s18, v7
	v_cndmask_b32_e64 v7, 0, -1, vcc
	v_cmp_eq_u32_e32 vcc, s19, v8
	v_cndmask_b32_e32 v7, v13, v7, vcc
	v_cmp_ne_u32_e32 vcc, 0, v7
	v_cndmask_b32_e64 v7, v14, v12, s[0:1]
	v_cndmask_b32_e32 v8, v9, v10, vcc
	v_cndmask_b32_e32 v7, v4, v7, vcc
.LBB0_4:                                ;   in Loop: Header=BB0_2 Depth=1
	s_andn2_saveexec_b64 s[0:1], s[20:21]
	s_cbranch_execz .LBB0_6
; %bb.5:                                ;   in Loop: Header=BB0_2 Depth=1
	v_cvt_f32_u32_e32 v4, s18
	s_sub_i32 s20, 0, s18
	v_rcp_iflag_f32_e32 v4, v4
	v_mul_f32_e32 v4, 0x4f7ffffe, v4
	v_cvt_u32_f32_e32 v4, v4
	v_mul_lo_u32 v7, s20, v4
	v_mul_hi_u32 v7, v4, v7
	v_add_u32_e32 v4, v4, v7
	v_mul_hi_u32 v4, v5, v4
	v_mul_lo_u32 v7, v4, s18
	v_add_u32_e32 v8, 1, v4
	v_sub_u32_e32 v7, v5, v7
	v_subrev_u32_e32 v9, s18, v7
	v_cmp_le_u32_e32 vcc, s18, v7
	v_cndmask_b32_e32 v7, v7, v9, vcc
	v_cndmask_b32_e32 v4, v4, v8, vcc
	v_add_u32_e32 v8, 1, v4
	v_cmp_le_u32_e32 vcc, s18, v7
	v_cndmask_b32_e32 v7, v4, v8, vcc
	v_mov_b32_e32 v8, v3
.LBB0_6:                                ;   in Loop: Header=BB0_2 Depth=1
	s_or_b64 exec, exec, s[0:1]
	v_mul_lo_u32 v4, v8, s18
	v_mul_lo_u32 v12, v7, s19
	v_mad_u64_u32 v[9:10], s[0:1], v7, s18, 0
	s_load_dwordx2 s[0:1], s[6:7], 0x0
	s_add_u32 s16, s16, 1
	v_add3_u32 v4, v10, v12, v4
	v_sub_co_u32_e32 v5, vcc, v5, v9
	v_subb_co_u32_e32 v4, vcc, v6, v4, vcc
	s_waitcnt lgkmcnt(0)
	v_mul_lo_u32 v4, s0, v4
	v_mul_lo_u32 v6, s1, v5
	v_mad_u64_u32 v[1:2], s[0:1], s0, v5, v[1:2]
	s_addc_u32 s17, s17, 0
	s_add_u32 s6, s6, 8
	v_add3_u32 v2, v6, v2, v4
	v_mov_b32_e32 v4, s10
	v_mov_b32_e32 v5, s11
	s_addc_u32 s7, s7, 0
	v_cmp_ge_u64_e32 vcc, s[16:17], v[4:5]
	s_add_u32 s14, s14, 8
	s_addc_u32 s15, s15, 0
	s_cbranch_vccnz .LBB0_9
; %bb.7:                                ;   in Loop: Header=BB0_2 Depth=1
	v_mov_b32_e32 v5, v7
	v_mov_b32_e32 v6, v8
	s_branch .LBB0_2
.LBB0_8:
	v_mov_b32_e32 v8, v6
	v_mov_b32_e32 v7, v5
.LBB0_9:
	s_lshl_b64 s[0:1], s[10:11], 3
	s_add_u32 s0, s2, s0
	s_addc_u32 s1, s3, s1
	s_load_dwordx2 s[2:3], s[0:1], 0x0
	s_load_dwordx2 s[6:7], s[4:5], 0x20
	s_waitcnt lgkmcnt(0)
	v_mul_lo_u32 v3, s2, v8
	v_mul_lo_u32 v4, s3, v7
	v_mad_u64_u32 v[9:10], s[0:1], s2, v7, v[1:2]
	v_and_b32_e32 v2, 3, v0
	v_cmp_gt_u64_e32 vcc, s[6:7], v[7:8]
	v_cmp_le_u64_e64 s[0:1], s[6:7], v[7:8]
	v_add3_u32 v10, v4, v10, v3
	v_or_b32_e32 v5, 4, v2
	v_or_b32_e32 v4, 8, v2
	s_and_saveexec_b64 s[2:3], s[0:1]
	s_xor_b64 s[0:1], exec, s[2:3]
; %bb.10:
	v_or_b32_e32 v5, 4, v2
	v_or_b32_e32 v4, 8, v2
; %bb.11:
	s_or_saveexec_b64 s[2:3], s[0:1]
	v_mul_u32_u24_e32 v6, 45, v11
	v_lshlrev_b64 v[0:1], 2, v[9:10]
	v_lshlrev_b32_e32 v3, 2, v2
	v_lshlrev_b32_e32 v18, 2, v6
	s_xor_b64 exec, exec, s[2:3]
	s_cbranch_execz .LBB0_13
; %bb.12:
	v_mov_b32_e32 v6, s13
	v_add_co_u32_e64 v7, s[0:1], s12, v0
	v_addc_co_u32_e64 v8, s[0:1], v6, v1, s[0:1]
	v_add_co_u32_e64 v6, s[0:1], v7, v3
	v_addc_co_u32_e64 v7, s[0:1], 0, v8, s[0:1]
	global_load_dword v8, v[6:7], off
	global_load_dword v9, v[6:7], off offset:16
	global_load_dword v10, v[6:7], off offset:32
	;; [unrolled: 1-line block ×10, first 2 shown]
	v_add3_u32 v6, 0, v18, v3
	s_waitcnt vmcnt(9)
	ds_write2_b32 v6, v8, v9 offset1:4
	s_waitcnt vmcnt(7)
	ds_write2_b32 v6, v10, v11 offset0:8 offset1:12
	s_waitcnt vmcnt(5)
	ds_write2_b32 v6, v12, v13 offset0:16 offset1:20
	;; [unrolled: 2-line block ×4, first 2 shown]
	s_waitcnt vmcnt(0)
	ds_write_b32 v6, v19 offset:160
.LBB0_13:
	s_or_b64 exec, exec, s[2:3]
	v_add_u32_e32 v17, 0, v18
	v_add_u32_e32 v16, v17, v3
	s_waitcnt lgkmcnt(0)
	; wave barrier
	s_waitcnt lgkmcnt(0)
	v_add3_u32 v19, 0, v3, v18
	ds_read_b32 v8, v16
	ds_read2_b32 v[6:7], v19 offset0:4 offset1:8
	ds_read2_b32 v[25:26], v19 offset0:12 offset1:16
	;; [unrolled: 1-line block ×5, first 2 shown]
	s_waitcnt lgkmcnt(4)
	v_pk_add_f16 v9, v8, v6
	v_pk_add_f16 v9, v9, v7
	s_waitcnt lgkmcnt(3)
	v_pk_add_f16 v9, v9, v25
	v_pk_add_f16 v9, v9, v26
	;; [unrolled: 3-line block ×5, first 2 shown]
	v_pk_add_f16 v9, v6, v12 neg_lo:[0,1] neg_hi:[0,1]
	s_mov_b32 s5, 0xb853
	v_pk_add_f16 v10, v12, v6
	v_mul_f16_sdwa v6, v9, s5 dst_sel:DWORD dst_unused:UNUSED_PAD src0_sel:WORD_1 src1_sel:DWORD
	s_movk_i32 s1, 0x3abb
	v_fma_f16 v12, v10, s1, -v6
	s_mov_b32 s0, 0x3abb36a6
	v_add_f16_e32 v14, v8, v12
	v_pk_mul_f16 v12, v10, s0
	s_mov_b32 s0, 0xbb47b853
	v_pk_fma_f16 v13, v9, s0, v12 op_sel:[0,0,1] op_sel_hi:[1,1,0] neg_lo:[1,0,0] neg_hi:[1,0,0]
	v_pk_fma_f16 v31, v9, s0, v12 op_sel:[0,0,1] op_sel_hi:[1,1,0]
	s_mov_b32 s6, 0xffff
	v_bfi_b32 v12, s6, v31, v13
	v_lshrrev_b32_e32 v22, 16, v10
	v_mul_f16_e32 v23, 0xbb47, v9
	s_movk_i32 s2, 0x36a6
	v_pk_add_f16 v15, v8, v12 op_sel:[1,0] op_sel_hi:[0,1]
	v_fma_f16 v12, v22, s2, v23
	s_mov_b32 s7, 0xbb47
	v_add_f16_sdwa v32, v8, v12 dst_sel:DWORD dst_unused:UNUSED_PAD src0_sel:WORD_1 src1_sel:DWORD
	v_pk_add_f16 v12, v11, v7
	v_pk_add_f16 v11, v7, v11 neg_lo:[0,1] neg_hi:[0,1]
	v_fma_f16 v6, v10, s1, v6
	v_mul_f16_sdwa v7, v11, s7 dst_sel:DWORD dst_unused:UNUSED_PAD src0_sel:WORD_1 src1_sel:DWORD
	v_add_f16_e32 v6, v8, v6
	v_fma_f16 v20, v12, s2, -v7
	v_fma_f16 v7, v12, s2, v7
	s_mov_b32 s7, 0x36a6b93d
	v_add_f16_e32 v6, v7, v6
	v_pk_mul_f16 v7, v12, s7
	s_mov_b32 s7, 0xba0cbb47
	v_add_f16_e32 v33, v20, v14
	v_pk_fma_f16 v14, v11, s7, v7 op_sel:[0,0,1] op_sel_hi:[1,1,0] neg_lo:[1,0,0] neg_hi:[1,0,0]
	v_pk_fma_f16 v7, v11, s7, v7 op_sel:[0,0,1] op_sel_hi:[1,1,0]
	v_bfi_b32 v20, s6, v7, v14
	s_mov_b32 s4, 0xb93d
	v_pk_add_f16 v34, v20, v15
	v_lshrrev_b32_e32 v24, 16, v12
	v_pk_add_f16 v20, v30, v25
	v_pk_add_f16 v15, v25, v30 neg_lo:[0,1] neg_hi:[0,1]
	v_pk_add_f16 v25, v29, v26
	v_pk_add_f16 v26, v26, v29 neg_lo:[0,1] neg_hi:[0,1]
	v_mul_f16_e32 v29, 0xba0c, v11
	s_mov_b32 s0, 0xbbeb
	v_fma_f16 v30, v24, s4, v29
	s_mov_b32 s3, 0xb08e
	v_add_f16_e32 v30, v30, v32
	v_mul_f16_sdwa v32, v15, s0 dst_sel:DWORD dst_unused:UNUSED_PAD src0_sel:WORD_1 src1_sel:DWORD
	v_fma_f16 v35, v20, s3, -v32
	v_fma_f16 v32, v20, s3, v32
	s_mov_b32 s7, 0xb08ebbad
	v_add_f16_e32 v6, v32, v6
	v_pk_mul_f16 v32, v20, s7
	s_mov_b32 s7, 0x3482bbeb
	v_add_f16_e32 v33, v35, v33
	v_pk_fma_f16 v35, v15, s7, v32 op_sel:[0,0,1] op_sel_hi:[1,1,0] neg_lo:[1,0,0] neg_hi:[1,0,0]
	v_pk_fma_f16 v32, v15, s7, v32 op_sel:[0,0,1] op_sel_hi:[1,1,0]
	v_bfi_b32 v36, s6, v32, v35
	v_pk_add_f16 v34, v36, v34
	s_mov_b32 s10, 0xbbad
	v_lshrrev_b32_e32 v36, 16, v20
	v_mul_f16_e32 v37, 0x3482, v15
	v_fma_f16 v38, v36, s10, v37
	s_mov_b32 s7, 0xba0c
	v_add_f16_e32 v30, v38, v30
	v_mul_f16_sdwa v38, v26, s7 dst_sel:DWORD dst_unused:UNUSED_PAD src0_sel:WORD_1 src1_sel:DWORD
	v_fma_f16 v39, v25, s4, -v38
	v_fma_f16 v38, v25, s4, v38
	s_mov_b32 s11, 0xb93db08e
	v_add_f16_e32 v6, v38, v6
	s_mov_b32 s14, 0x3bebba0c
	v_pk_mul_f16 v38, v25, s11
	v_add_f16_e32 v33, v39, v33
	v_pk_fma_f16 v39, v26, s14, v38 op_sel:[0,0,1] op_sel_hi:[1,1,0] neg_lo:[1,0,0] neg_hi:[1,0,0]
	v_pk_fma_f16 v38, v26, s14, v38 op_sel:[0,0,1] op_sel_hi:[1,1,0]
	v_bfi_b32 v40, s6, v38, v39
	v_pk_add_f16 v34, v40, v34
	v_lshrrev_b32_e32 v40, 16, v25
	v_mul_f16_e32 v41, 0x3beb, v26
	v_fma_f16 v42, v40, s3, v41
	v_add_f16_sdwa v31, v8, v31 dst_sel:DWORD dst_unused:UNUSED_PAD src0_sel:DWORD src1_sel:WORD_1
	v_add_f16_e32 v30, v42, v30
	v_pk_add_f16 v42, v28, v27
	v_pk_add_f16 v27, v27, v28 neg_lo:[0,1] neg_hi:[0,1]
	s_mov_b32 s11, 0xb482
	v_add_f16_sdwa v7, v7, v31 dst_sel:DWORD dst_unused:UNUSED_PAD src0_sel:WORD_1 src1_sel:DWORD
	v_mul_f16_sdwa v28, v27, s11 dst_sel:DWORD dst_unused:UNUSED_PAD src0_sel:WORD_1 src1_sel:DWORD
	v_add_f16_sdwa v7, v32, v7 dst_sel:DWORD dst_unused:UNUSED_PAD src0_sel:WORD_1 src1_sel:DWORD
	s_mov_b32 s14, 0xbbad3abb
	v_fma_f16 v43, v42, s10, -v28
	v_add_f16_sdwa v31, v38, v7 dst_sel:DWORD dst_unused:UNUSED_PAD src0_sel:WORD_1 src1_sel:DWORD
	v_fma_f16 v7, v42, s10, v28
	s_mov_b32 s15, 0x3853b482
	v_pk_mul_f16 v28, v42, s14
	v_pk_fma_f16 v32, v27, s15, v28 op_sel:[0,0,1] op_sel_hi:[1,1,0]
	v_pk_fma_f16 v28, v27, s15, v28 op_sel:[0,0,1] op_sel_hi:[1,1,0] neg_lo:[1,0,0] neg_hi:[1,0,0]
	v_add_f16_e32 v7, v7, v6
	v_add_f16_sdwa v6, v32, v31 dst_sel:DWORD dst_unused:UNUSED_PAD src0_sel:WORD_1 src1_sel:DWORD
	v_bfi_b32 v31, s6, v32, v28
	v_pk_add_f16 v31, v31, v34
	v_lshrrev_b32_e32 v32, 16, v42
	v_mul_f16_e32 v34, 0x3853, v27
	v_fma_f16 v38, v32, s1, v34
	v_add_f16_e32 v33, v43, v33
	v_add_f16_e32 v30, v38, v30
	v_alignbit_b32 v30, v30, v31, 16
	v_pack_b32_f16 v31, v33, v31
	v_mad_u32_u24 v33, v2, 40, v19
	s_waitcnt lgkmcnt(0)
	; wave barrier
	ds_write2_b32 v33, v31, v30 offset0:1 offset1:2
	ds_write_b32 v33, v21
	v_fma_f16 v21, v22, s2, -v23
	v_add_f16_sdwa v21, v8, v21 dst_sel:DWORD dst_unused:UNUSED_PAD src0_sel:WORD_1 src1_sel:DWORD
	v_fma_f16 v29, v24, s4, -v29
	v_mul_f16_e32 v23, 0xbbeb, v9
	v_mul_f16_e32 v31, 0xba0c, v9
	v_add_f16_e32 v21, v29, v21
	v_mul_f16_sdwa v29, v9, s0 dst_sel:DWORD dst_unused:UNUSED_PAD src0_sel:WORD_1 src1_sel:DWORD
	s_movk_i32 s6, 0x3482
	v_fma_f16 v30, v22, s3, v23
	v_fma_f16 v23, v22, s3, -v23
	v_fma_f16 v38, v22, s4, v31
	v_fma_f16 v22, v22, s4, -v31
	v_fma_f16 v31, v10, s3, -v29
	v_mul_f16_sdwa v43, v11, s6 dst_sel:DWORD dst_unused:UNUSED_PAD src0_sel:WORD_1 src1_sel:DWORD
	v_add_f16_e32 v31, v8, v31
	v_fma_f16 v44, v12, s10, -v43
	v_fma_f16 v29, v10, s3, v29
	v_add_f16_e32 v31, v44, v31
	v_mul_f16_e32 v44, 0x3482, v11
	v_add_f16_e32 v29, v8, v29
	v_fma_f16 v43, v12, s10, v43
	v_add_f16_e32 v29, v43, v29
	v_add_f16_sdwa v23, v8, v23 dst_sel:DWORD dst_unused:UNUSED_PAD src0_sel:WORD_1 src1_sel:DWORD
	v_fma_f16 v43, v24, s10, -v44
	v_add_f16_sdwa v30, v8, v30 dst_sel:DWORD dst_unused:UNUSED_PAD src0_sel:WORD_1 src1_sel:DWORD
	v_fma_f16 v45, v24, s10, v44
	v_add_f16_e32 v23, v43, v23
	v_mul_f16_sdwa v43, v9, s7 dst_sel:DWORD dst_unused:UNUSED_PAD src0_sel:WORD_1 src1_sel:DWORD
	s_movk_i32 s6, 0x3beb
	v_add_f16_e32 v30, v45, v30
	v_fma_f16 v44, v10, s4, -v43
	v_mul_f16_sdwa v45, v11, s6 dst_sel:DWORD dst_unused:UNUSED_PAD src0_sel:WORD_1 src1_sel:DWORD
	v_add_f16_e32 v44, v8, v44
	v_fma_f16 v46, v12, s3, -v45
	v_add_f16_e32 v44, v46, v44
	v_mul_f16_e32 v46, 0x3beb, v11
	v_fma_f16 v47, v24, s3, v46
	v_fma_f16 v24, v24, s3, -v46
	v_add_f16_sdwa v22, v8, v22 dst_sel:DWORD dst_unused:UNUSED_PAD src0_sel:WORD_1 src1_sel:DWORD
	v_add_f16_e32 v22, v24, v22
	v_fma_f16 v24, v36, s10, -v37
	s_movk_i32 s6, 0x3b47
	v_add_f16_e32 v21, v24, v21
	v_mul_f16_sdwa v24, v15, s6 dst_sel:DWORD dst_unused:UNUSED_PAD src0_sel:WORD_1 src1_sel:DWORD
	v_fma_f16 v37, v20, s2, -v24
	v_add_f16_e32 v31, v37, v31
	v_mul_f16_e32 v37, 0x3b47, v15
	v_fma_f16 v24, v20, s2, v24
	v_fma_f16 v43, v10, s4, v43
	v_add_f16_e32 v24, v24, v29
	v_fma_f16 v29, v36, s2, -v37
	v_add_f16_e32 v43, v8, v43
	v_fma_f16 v45, v12, s3, v45
	v_add_f16_e32 v23, v29, v23
	v_mul_f16_sdwa v29, v15, s5 dst_sel:DWORD dst_unused:UNUSED_PAD src0_sel:WORD_1 src1_sel:DWORD
	v_add_f16_e32 v43, v45, v43
	v_fma_f16 v45, v36, s2, v37
	v_fma_f16 v37, v20, s1, -v29
	v_add_f16_e32 v37, v37, v44
	v_mul_f16_e32 v44, 0xb853, v15
	v_add_f16_e32 v30, v45, v30
	v_fma_f16 v45, v36, s1, v44
	v_fma_f16 v36, v36, s1, -v44
	v_add_f16_e32 v22, v36, v22
	v_fma_f16 v36, v40, s3, -v41
	v_add_f16_e32 v21, v36, v21
	v_mul_f16_sdwa v36, v26, s5 dst_sel:DWORD dst_unused:UNUSED_PAD src0_sel:WORD_1 src1_sel:DWORD
	v_fma_f16 v41, v25, s1, -v36
	v_add_f16_e32 v31, v41, v31
	v_mul_f16_e32 v41, 0xb853, v26
	v_fma_f16 v36, v25, s1, v36
	v_add_f16_e32 v36, v36, v24
	v_fma_f16 v24, v40, s1, -v41
	v_fma_f16 v29, v20, s1, v29
	v_add_f16_e32 v23, v24, v23
	v_mul_f16_sdwa v24, v26, s11 dst_sel:DWORD dst_unused:UNUSED_PAD src0_sel:WORD_1 src1_sel:DWORD
	v_add_f16_sdwa v13, v8, v13 dst_sel:DWORD dst_unused:UNUSED_PAD src0_sel:WORD_1 src1_sel:DWORD
	v_add_f16_e32 v29, v29, v43
	v_fma_f16 v43, v40, s1, v41
	v_fma_f16 v41, v25, s10, -v24
	v_add_f16_e32 v13, v14, v13
	v_add_f16_e32 v37, v41, v37
	v_mul_f16_e32 v41, 0xb482, v26
	v_fma_f16 v24, v25, s10, v24
	v_add_f16_e32 v13, v35, v13
	v_add_f16_e32 v29, v24, v29
	v_fma_f16 v24, v40, s10, -v41
	v_add_f16_e32 v13, v39, v13
	v_add_f16_e32 v30, v43, v30
	v_fma_f16 v43, v40, s10, v41
	v_add_f16_e32 v40, v24, v22
	v_add_f16_e32 v22, v28, v13
	v_fma_f16 v13, v32, s1, -v34
	v_add_f16_e32 v24, v13, v21
	v_mul_f16_sdwa v13, v27, s7 dst_sel:DWORD dst_unused:UNUSED_PAD src0_sel:WORD_1 src1_sel:DWORD
	v_mul_f16_e32 v28, 0xba0c, v27
	v_add_f16_sdwa v38, v8, v38 dst_sel:DWORD dst_unused:UNUSED_PAD src0_sel:WORD_1 src1_sel:DWORD
	v_fma_f16 v14, v42, s4, -v13
	v_fma_f16 v21, v32, s4, v28
	v_fma_f16 v13, v42, s4, v13
	v_add_f16_e32 v38, v47, v38
	v_add_f16_e32 v30, v21, v30
	v_add_f16_e32 v21, v13, v36
	v_fma_f16 v13, v32, s4, -v28
	v_add_f16_e32 v38, v45, v38
	v_add_f16_e32 v14, v14, v31
	v_add_f16_e32 v23, v13, v23
	v_mul_f16_sdwa v13, v27, s6 dst_sel:DWORD dst_unused:UNUSED_PAD src0_sel:WORD_1 src1_sel:DWORD
	v_mul_f16_e32 v31, 0x3b47, v27
	v_add_f16_e32 v38, v43, v38
	v_fma_f16 v28, v42, s2, -v13
	v_fma_f16 v34, v32, s2, v31
	v_add_f16_e32 v28, v28, v37
	v_add_f16_e32 v34, v34, v38
	v_pack_b32_f16 v28, v28, v34
	v_pack_b32_f16 v14, v14, v30
	v_pk_mul_f16 v10, v10, s10 op_sel_hi:[1,0]
	ds_write2_b32 v33, v14, v28 offset0:3 offset1:4
	v_pk_fma_f16 v14, v9, s11, v10 op_sel:[0,0,1] op_sel_hi:[1,0,0] neg_lo:[1,0,0] neg_hi:[1,0,0]
	v_fma_f16 v13, v42, s2, v13
	s_movk_i32 s5, 0x3853
	v_alignbit_b32 v28, s0, v14, 16
	v_pk_fma_f16 v9, v9, s11, v10 op_sel:[0,0,1] op_sel_hi:[1,0,0]
	v_pk_mul_f16 v10, v12, s1 op_sel_hi:[1,0]
	v_add_f16_e32 v13, v13, v29
	v_fma_f16 v29, v32, s2, -v31
	v_alignbit_b32 v31, s0, v8, 16
	v_pk_add_f16 v28, v8, v28
	v_pk_add_f16 v8, v8, v9 op_sel:[1,0] op_sel_hi:[0,1]
	v_pk_fma_f16 v12, v11, s5, v10 op_sel:[0,0,1] op_sel_hi:[1,0,0] neg_lo:[1,0,0] neg_hi:[1,0,0]
	v_pk_fma_f16 v10, v11, s5, v10 op_sel:[0,0,1] op_sel_hi:[1,0,0]
	v_pk_add_f16 v8, v10, v8
	v_pk_mul_f16 v10, v20, s4 op_sel_hi:[1,0]
	v_pk_add_f16 v9, v31, v14
	v_pk_fma_f16 v11, v15, s7, v10 op_sel:[0,0,1] op_sel_hi:[1,0,0] neg_lo:[1,0,0] neg_hi:[1,0,0]
	v_pk_fma_f16 v10, v15, s7, v10 op_sel:[0,0,1] op_sel_hi:[1,0,0]
	v_pk_add_f16 v9, v12, v9
	v_pk_add_f16 v8, v10, v8
	v_pk_mul_f16 v10, v25, s2 op_sel_hi:[1,0]
	v_alignbit_b32 v14, s0, v12, 16
	v_alignbit_b32 v12, s0, v11, 16
	v_pk_add_f16 v9, v11, v9
	v_pk_fma_f16 v11, v26, s6, v10 op_sel:[0,0,1] op_sel_hi:[1,0,0] neg_lo:[1,0,0] neg_hi:[1,0,0]
	v_pk_fma_f16 v10, v26, s6, v10 op_sel:[0,0,1] op_sel_hi:[1,0,0]
	v_pk_add_f16 v14, v14, v28
	v_pk_add_f16 v8, v10, v8
	v_pk_mul_f16 v10, v42, s3 op_sel_hi:[1,0]
	v_pk_add_f16 v12, v12, v14
	v_alignbit_b32 v14, s0, v11, 16
	v_pk_add_f16 v9, v11, v9
	v_pk_fma_f16 v11, v27, s0, v10 op_sel:[0,0,1] op_sel_hi:[1,0,0] neg_lo:[1,0,0] neg_hi:[1,0,0]
	v_pk_add_f16 v12, v14, v12
	v_alignbit_b32 v14, s0, v11, 16
	v_pk_fma_f16 v10, v27, s0, v10 op_sel:[0,0,1] op_sel_hi:[1,0,0]
	v_pk_add_f16 v12, v14, v12
	v_pk_add_f16 v8, v10, v8
	;; [unrolled: 1-line block ×3, first 2 shown]
	v_add_f16_e32 v29, v29, v40
	v_alignbit_b32 v9, v9, v8, 16
	v_pack_b32_f16 v8, v12, v8
	ds_write2_b32 v33, v8, v9 offset0:5 offset1:6
	v_pack_b32_f16 v8, v21, v23
	v_pack_b32_f16 v9, v13, v29
	ds_write2_b32 v33, v9, v8 offset0:7 offset1:8
	v_pack_b32_f16 v8, v7, v22
	v_pack_b32_f16 v9, v6, v24
	ds_write2_b32 v33, v9, v8 offset0:9 offset1:10
	s_waitcnt lgkmcnt(0)
	; wave barrier
	s_waitcnt lgkmcnt(0)
	ds_read2_b32 v[12:13], v19 offset0:11 offset1:15
	ds_read2_b32 v[10:11], v19 offset0:22 offset1:26
	;; [unrolled: 1-line block ×3, first 2 shown]
	v_lshl_add_u32 v20, v5, 2, v17
	ds_read_b32 v29, v16
	ds_read_b32 v28, v20
	v_cmp_eq_u32_e64 s[0:1], 3, v2
	v_cmp_ne_u32_e64 s[2:3], 3, v2
	v_lshlrev_b32_e32 v25, 2, v4
                                        ; implicit-def: $vgpr27
                                        ; implicit-def: $vgpr26
	s_and_saveexec_b64 s[4:5], s[2:3]
	s_cbranch_execz .LBB0_15
; %bb.14:
	v_add3_u32 v6, 0, v25, v18
	ds_read_b32 v21, v6
	ds_read_b32 v26, v19 offset:164
	ds_read2_b32 v[6:7], v19 offset0:19 offset1:30
	ds_read_u16 v22, v19 offset:122
	s_waitcnt lgkmcnt(3)
	v_lshrrev_b32_e32 v23, 16, v21
	s_waitcnt lgkmcnt(2)
	v_lshrrev_b32_e32 v27, 16, v26
	;; [unrolled: 2-line block ×3, first 2 shown]
.LBB0_15:
	s_or_b64 exec, exec, s[4:5]
	v_mul_u32_u24_e32 v14, 3, v2
	v_lshlrev_b32_e32 v14, 2, v14
	global_load_dwordx3 v[30:32], v14, s[8:9]
	v_mul_i32_i24_e32 v14, 3, v5
	v_mov_b32_e32 v15, 0
	v_lshlrev_b64 v[33:34], 2, v[14:15]
	v_mov_b32_e32 v35, s9
	v_add_co_u32_e64 v33, s[4:5], s8, v33
	v_addc_co_u32_e64 v34, s[4:5], v35, v34, s[4:5]
	global_load_dwordx3 v[33:35], v[33:34], off
	s_waitcnt lgkmcnt(2)
	v_lshrrev_b32_e32 v40, 16, v8
	v_lshrrev_b32_e32 v41, 16, v10
	v_lshrrev_b32_e32 v42, 16, v12
	v_lshrrev_b32_e32 v37, 16, v9
	v_lshrrev_b32_e32 v38, 16, v11
	v_lshrrev_b32_e32 v39, 16, v13
	s_waitcnt lgkmcnt(1)
	v_lshrrev_b32_e32 v14, 16, v29
	s_waitcnt lgkmcnt(0)
	v_lshrrev_b32_e32 v36, 16, v28
	s_waitcnt lgkmcnt(0)
	; wave barrier
	s_waitcnt vmcnt(1)
	v_mul_f16_sdwa v43, v30, v42 dst_sel:DWORD dst_unused:UNUSED_PAD src0_sel:WORD_1 src1_sel:DWORD
	v_mul_f16_sdwa v44, v30, v12 dst_sel:DWORD dst_unused:UNUSED_PAD src0_sel:WORD_1 src1_sel:DWORD
	;; [unrolled: 1-line block ×6, first 2 shown]
	v_fma_f16 v12, v30, v12, -v43
	v_fma_f16 v30, v30, v42, v44
	v_fma_f16 v10, v31, v10, -v45
	v_fma_f16 v31, v31, v41, v46
	;; [unrolled: 2-line block ×3, first 2 shown]
	s_waitcnt vmcnt(0)
	v_mul_f16_sdwa v40, v33, v39 dst_sel:DWORD dst_unused:UNUSED_PAD src0_sel:WORD_1 src1_sel:DWORD
	v_mul_f16_sdwa v41, v33, v13 dst_sel:DWORD dst_unused:UNUSED_PAD src0_sel:WORD_1 src1_sel:DWORD
	;; [unrolled: 1-line block ×6, first 2 shown]
	v_sub_f16_e32 v10, v29, v10
	v_sub_f16_e32 v31, v14, v31
	;; [unrolled: 1-line block ×4, first 2 shown]
	v_fma_f16 v13, v33, v13, -v40
	v_fma_f16 v33, v33, v39, v41
	v_fma_f16 v11, v34, v11, -v42
	v_fma_f16 v34, v34, v38, v43
	;; [unrolled: 2-line block ×3, first 2 shown]
	v_fma_f16 v29, v29, 2.0, -v10
	v_fma_f16 v14, v14, 2.0, -v31
	;; [unrolled: 1-line block ×4, first 2 shown]
	v_sub_f16_e32 v32, v10, v32
	v_add_f16_e32 v8, v31, v8
	v_sub_f16_e32 v11, v28, v11
	v_sub_f16_e32 v34, v36, v34
	;; [unrolled: 1-line block ×6, first 2 shown]
	v_fma_f16 v10, v10, 2.0, -v32
	v_fma_f16 v31, v31, 2.0, -v8
	v_pack_b32_f16 v8, v32, v8
	v_fma_f16 v28, v28, 2.0, -v11
	v_fma_f16 v32, v36, 2.0, -v34
	;; [unrolled: 1-line block ×6, first 2 shown]
	v_sub_f16_e32 v35, v11, v35
	v_add_f16_e32 v9, v34, v9
	v_pack_b32_f16 v12, v12, v30
	v_sub_f16_e32 v13, v28, v13
	v_sub_f16_e32 v30, v32, v33
	v_pack_b32_f16 v10, v10, v31
	v_fma_f16 v11, v11, 2.0, -v35
	v_fma_f16 v31, v34, 2.0, -v9
	v_pack_b32_f16 v14, v29, v14
	ds_write2_b32 v19, v12, v8 offset0:22 offset1:33
	v_pack_b32_f16 v8, v35, v9
	v_fma_f16 v9, v28, 2.0, -v13
	v_fma_f16 v12, v32, 2.0, -v30
	ds_write2_b32 v19, v14, v10 offset1:11
	v_pack_b32_f16 v10, v11, v31
	v_pack_b32_f16 v9, v9, v12
	;; [unrolled: 1-line block ×3, first 2 shown]
	ds_write2_b32 v20, v9, v10 offset1:11
	ds_write2_b32 v20, v11, v8 offset0:22 offset1:33
	s_and_saveexec_b64 s[4:5], s[2:3]
	s_cbranch_execz .LBB0_17
; %bb.16:
	v_mul_i32_i24_e32 v8, 3, v4
	v_cndmask_b32_e64 v14, v8, 0, s[0:1]
	v_lshlrev_b64 v[8:9], 2, v[14:15]
	v_mov_b32_e32 v10, s9
	v_add_co_u32_e64 v8, s[2:3], s8, v8
	v_addc_co_u32_e64 v9, s[2:3], v10, v9, s[2:3]
	global_load_dwordx3 v[8:10], v[8:9], off
	v_add3_u32 v11, 0, v25, v18
	s_waitcnt vmcnt(0)
	v_mul_f16_sdwa v12, v22, v9 dst_sel:DWORD dst_unused:UNUSED_PAD src0_sel:DWORD src1_sel:WORD_1
	v_mul_f16_sdwa v13, v6, v8 dst_sel:DWORD dst_unused:UNUSED_PAD src0_sel:DWORD src1_sel:WORD_1
	;; [unrolled: 1-line block ×6, first 2 shown]
	v_fma_f16 v7, v7, v9, -v12
	v_fma_f16 v12, v24, v8, v13
	v_fma_f16 v13, v27, v10, v14
	;; [unrolled: 1-line block ×3, first 2 shown]
	v_fma_f16 v6, v6, v8, -v18
	v_fma_f16 v8, v26, v10, -v25
	v_sub_f16_e32 v7, v21, v7
	v_sub_f16_e32 v10, v12, v13
	;; [unrolled: 1-line block ×5, first 2 shown]
	v_add_f16_e32 v14, v9, v8
	v_fma_f16 v15, v21, 2.0, -v7
	v_fma_f16 v6, v6, 2.0, -v8
	;; [unrolled: 1-line block ×4, first 2 shown]
	v_sub_f16_e32 v6, v15, v6
	v_sub_f16_e32 v10, v8, v10
	v_fma_f16 v7, v7, 2.0, -v13
	v_pack_b32_f16 v12, v13, v14
	v_fma_f16 v13, v15, 2.0, -v6
	v_fma_f16 v8, v8, 2.0, -v10
	;; [unrolled: 1-line block ×3, first 2 shown]
	v_pack_b32_f16 v8, v13, v8
	v_pack_b32_f16 v7, v7, v9
	;; [unrolled: 1-line block ×3, first 2 shown]
	ds_write_b32 v11, v8
	ds_write2_b32 v19, v7, v6 offset0:19 offset1:30
	ds_write_b32 v19, v12 offset:164
.LBB0_17:
	s_or_b64 exec, exec, s[4:5]
	s_waitcnt lgkmcnt(0)
	; wave barrier
	s_waitcnt lgkmcnt(0)
	ds_read_b32 v6, v16
	v_sub_u32_e32 v9, v17, v3
	v_cmp_ne_u32_e64 s[2:3], 0, v2
                                        ; implicit-def: $vgpr12
                                        ; implicit-def: $vgpr10
                                        ; implicit-def: $vgpr11
                                        ; implicit-def: $vgpr7_vgpr8
	s_and_saveexec_b64 s[4:5], s[2:3]
	s_xor_b64 s[2:3], exec, s[4:5]
	s_cbranch_execz .LBB0_19
; %bb.18:
	global_load_dword v7, v3, s[8:9] offset:132
	ds_read_b32 v8, v9 offset:176
	v_mov_b32_e32 v3, 0
	s_waitcnt lgkmcnt(0)
	v_add_f16_sdwa v11, v8, v6 dst_sel:DWORD dst_unused:UNUSED_PAD src0_sel:WORD_1 src1_sel:WORD_1
	v_sub_f16_e32 v12, v6, v8
	v_add_f16_e32 v10, v8, v6
	v_sub_f16_sdwa v6, v6, v8 dst_sel:DWORD dst_unused:UNUSED_PAD src0_sel:WORD_1 src1_sel:WORD_1
	v_mul_f16_e32 v8, 0.5, v11
	v_mul_f16_e32 v12, 0.5, v12
	;; [unrolled: 1-line block ×3, first 2 shown]
	s_waitcnt vmcnt(0)
	v_lshrrev_b32_e32 v11, 16, v7
	v_mul_f16_e32 v13, v11, v12
	v_fma_f16 v14, v8, v11, v6
	v_fma_f16 v6, v8, v11, -v6
	v_fma_f16 v15, v10, 0.5, v13
	v_fma_f16 v10, v10, 0.5, -v13
	v_fma_f16 v11, -v7, v12, v14
	v_fma_f16 v12, -v7, v12, v6
	v_fma_f16 v6, v7, v8, v15
	v_fma_f16 v10, -v7, v8, v10
	v_mov_b32_e32 v8, v3
	ds_write_b16 v16, v6
	v_mov_b32_e32 v7, v2
                                        ; implicit-def: $vgpr6
.LBB0_19:
	s_andn2_saveexec_b64 s[2:3], s[2:3]
	s_cbranch_execz .LBB0_21
; %bb.20:
	ds_read_u16 v3, v17 offset:90
	s_waitcnt lgkmcnt(1)
	v_add_f16_sdwa v11, v6, v6 dst_sel:DWORD dst_unused:UNUSED_PAD src0_sel:WORD_1 src1_sel:DWORD
	v_mov_b32_e32 v7, 0
	v_sub_f16_sdwa v10, v6, v6 dst_sel:DWORD dst_unused:UNUSED_PAD src0_sel:DWORD src1_sel:WORD_1
	v_mov_b32_e32 v8, 0
	ds_write_b16 v16, v11
	s_waitcnt lgkmcnt(1)
	v_xor_b32_e32 v3, 0x8000, v3
	v_mov_b32_e32 v11, 0
	v_mov_b32_e32 v12, 0
	ds_write_b16 v17, v3 offset:90
.LBB0_21:
	s_or_b64 exec, exec, s[2:3]
	s_waitcnt lgkmcnt(0)
	v_mov_b32_e32 v6, 0
	v_lshlrev_b64 v[13:14], 2, v[5:6]
	v_mov_b32_e32 v3, s9
	v_add_co_u32_e64 v13, s[2:3], s8, v13
	v_addc_co_u32_e64 v14, s[2:3], v3, v14, s[2:3]
	global_load_dword v3, v[13:14], off offset:132
	v_mov_b32_e32 v5, v6
	v_lshlrev_b64 v[5:6], 2, v[4:5]
	v_mov_b32_e32 v13, s9
	v_add_co_u32_e64 v5, s[2:3], s8, v5
	v_addc_co_u32_e64 v6, s[2:3], v13, v6, s[2:3]
	global_load_dword v13, v[5:6], off offset:132
	s_add_u32 s2, s8, 0x84
	v_lshlrev_b64 v[5:6], 2, v[7:8]
	s_addc_u32 s3, s9, 0
	v_mov_b32_e32 v8, s3
	v_add_co_u32_e64 v7, s[2:3], s2, v5
	v_addc_co_u32_e64 v8, s[2:3], v8, v6, s[2:3]
	global_load_dword v14, v[7:8], off offset:48
	s_mov_b32 s2, 0x5040100
	v_perm_b32 v10, v12, v10, s2
	ds_write_b16 v16, v11 offset:2
	ds_write_b32 v9, v10 offset:176
	ds_read_b32 v10, v20
	ds_read_b32 v11, v9 offset:160
	global_load_dword v12, v[7:8], off offset:64
	s_mov_b32 s6, 0xffff
	v_lshl_add_u32 v4, v4, 2, v17
	v_or_b32_e32 v2, 20, v2
	s_waitcnt lgkmcnt(0)
	v_pk_add_f16 v15, v10, v11 neg_lo:[0,1] neg_hi:[0,1]
	v_pk_add_f16 v10, v10, v11
	v_bfi_b32 v11, s6, v15, v10
	v_bfi_b32 v10, s6, v10, v15
	v_pk_mul_f16 v11, v11, 0.5 op_sel_hi:[1,0]
	v_pk_mul_f16 v10, v10, 0.5 op_sel_hi:[1,0]
	v_cmp_gt_u32_e64 s[2:3], 22, v2
	s_waitcnt vmcnt(3)
	v_pk_fma_f16 v15, v3, v11, v10 op_sel:[1,0,0]
	v_pk_mul_f16 v17, v3, v11 op_sel_hi:[0,1]
	v_pk_fma_f16 v18, v3, v11, v10 op_sel:[1,0,0] neg_lo:[1,0,0] neg_hi:[1,0,0]
	v_pk_fma_f16 v3, v3, v11, v10 op_sel:[1,0,0] neg_lo:[0,0,1] neg_hi:[0,0,1]
	v_pk_add_f16 v10, v15, v17 op_sel:[0,1] op_sel_hi:[1,0]
	v_pk_add_f16 v11, v15, v17 op_sel:[0,1] op_sel_hi:[1,0] neg_lo:[0,1] neg_hi:[0,1]
	v_pk_add_f16 v15, v18, v17 op_sel:[0,1] op_sel_hi:[1,0] neg_lo:[0,1] neg_hi:[0,1]
	;; [unrolled: 1-line block ×3, first 2 shown]
	v_bfi_b32 v10, s6, v10, v11
	v_bfi_b32 v3, s6, v15, v3
	ds_write_b32 v20, v10
	ds_write_b32 v9, v3 offset:160
	ds_read_b32 v3, v4
	ds_read_b32 v10, v9 offset:144
	s_waitcnt lgkmcnt(0)
	v_pk_add_f16 v11, v3, v10 neg_lo:[0,1] neg_hi:[0,1]
	v_pk_add_f16 v3, v3, v10
	v_bfi_b32 v10, s6, v11, v3
	v_bfi_b32 v3, s6, v3, v11
	v_pk_mul_f16 v10, v10, 0.5 op_sel_hi:[1,0]
	v_pk_mul_f16 v3, v3, 0.5 op_sel_hi:[1,0]
	s_waitcnt vmcnt(2)
	v_pk_fma_f16 v11, v13, v10, v3 op_sel:[1,0,0]
	v_pk_mul_f16 v15, v13, v10 op_sel_hi:[0,1]
	v_pk_fma_f16 v17, v13, v10, v3 op_sel:[1,0,0] neg_lo:[1,0,0] neg_hi:[1,0,0]
	v_pk_fma_f16 v3, v13, v10, v3 op_sel:[1,0,0] neg_lo:[0,0,1] neg_hi:[0,0,1]
	v_pk_add_f16 v10, v11, v15 op_sel:[0,1] op_sel_hi:[1,0]
	v_pk_add_f16 v11, v11, v15 op_sel:[0,1] op_sel_hi:[1,0] neg_lo:[0,1] neg_hi:[0,1]
	v_pk_add_f16 v13, v17, v15 op_sel:[0,1] op_sel_hi:[1,0] neg_lo:[0,1] neg_hi:[0,1]
	;; [unrolled: 1-line block ×3, first 2 shown]
	v_bfi_b32 v10, s6, v10, v11
	v_bfi_b32 v3, s6, v13, v3
	ds_write_b32 v4, v10
	ds_write_b32 v9, v3 offset:144
	ds_read_b32 v3, v16 offset:48
	ds_read_b32 v4, v9 offset:128
	s_waitcnt lgkmcnt(0)
	v_pk_add_f16 v10, v3, v4 neg_lo:[0,1] neg_hi:[0,1]
	v_pk_add_f16 v3, v3, v4
	v_bfi_b32 v4, s6, v10, v3
	v_bfi_b32 v3, s6, v3, v10
	v_pk_mul_f16 v4, v4, 0.5 op_sel_hi:[1,0]
	v_pk_mul_f16 v3, v3, 0.5 op_sel_hi:[1,0]
	s_waitcnt vmcnt(1)
	v_pk_fma_f16 v10, v14, v4, v3 op_sel:[1,0,0]
	v_pk_mul_f16 v11, v14, v4 op_sel_hi:[0,1]
	v_pk_fma_f16 v13, v14, v4, v3 op_sel:[1,0,0] neg_lo:[1,0,0] neg_hi:[1,0,0]
	v_pk_fma_f16 v3, v14, v4, v3 op_sel:[1,0,0] neg_lo:[0,0,1] neg_hi:[0,0,1]
	v_pk_add_f16 v4, v10, v11 op_sel:[0,1] op_sel_hi:[1,0]
	v_pk_add_f16 v10, v10, v11 op_sel:[0,1] op_sel_hi:[1,0] neg_lo:[0,1] neg_hi:[0,1]
	v_pk_add_f16 v13, v13, v11 op_sel:[0,1] op_sel_hi:[1,0] neg_lo:[0,1] neg_hi:[0,1]
	;; [unrolled: 1-line block ×3, first 2 shown]
	v_bfi_b32 v4, s6, v4, v10
	v_bfi_b32 v3, s6, v13, v3
	ds_write_b32 v16, v4 offset:48
	ds_write_b32 v9, v3 offset:128
	ds_read_b32 v3, v16 offset:64
	ds_read_b32 v4, v9 offset:112
	s_waitcnt lgkmcnt(0)
	v_pk_add_f16 v10, v3, v4 neg_lo:[0,1] neg_hi:[0,1]
	v_pk_add_f16 v3, v3, v4
	v_bfi_b32 v4, s6, v10, v3
	v_bfi_b32 v3, s6, v3, v10
	v_pk_mul_f16 v4, v4, 0.5 op_sel_hi:[1,0]
	v_pk_mul_f16 v3, v3, 0.5 op_sel_hi:[1,0]
	s_waitcnt vmcnt(0)
	v_pk_fma_f16 v10, v12, v4, v3 op_sel:[1,0,0]
	v_pk_mul_f16 v11, v12, v4 op_sel_hi:[0,1]
	v_pk_fma_f16 v13, v12, v4, v3 op_sel:[1,0,0] neg_lo:[1,0,0] neg_hi:[1,0,0]
	v_pk_fma_f16 v3, v12, v4, v3 op_sel:[1,0,0] neg_lo:[0,0,1] neg_hi:[0,0,1]
	v_pk_add_f16 v4, v10, v11 op_sel:[0,1] op_sel_hi:[1,0]
	v_pk_add_f16 v10, v10, v11 op_sel:[0,1] op_sel_hi:[1,0] neg_lo:[0,1] neg_hi:[0,1]
	v_pk_add_f16 v12, v13, v11 op_sel:[0,1] op_sel_hi:[1,0] neg_lo:[0,1] neg_hi:[0,1]
	v_pk_add_f16 v3, v3, v11 op_sel:[0,1] op_sel_hi:[1,0] neg_lo:[0,1] neg_hi:[0,1]
	v_bfi_b32 v4, s6, v4, v10
	v_bfi_b32 v3, s6, v12, v3
	ds_write_b32 v16, v4 offset:64
	ds_write_b32 v9, v3 offset:112
	s_and_saveexec_b64 s[4:5], s[2:3]
	s_cbranch_execz .LBB0_23
; %bb.22:
	global_load_dword v2, v[7:8], off offset:80
	ds_read_b32 v3, v16 offset:80
	ds_read_b32 v4, v9 offset:96
	s_waitcnt lgkmcnt(0)
	v_pk_add_f16 v7, v3, v4 neg_lo:[0,1] neg_hi:[0,1]
	v_pk_add_f16 v3, v3, v4
	v_bfi_b32 v4, s6, v7, v3
	v_bfi_b32 v3, s6, v3, v7
	v_pk_mul_f16 v4, v4, 0.5 op_sel_hi:[1,0]
	v_pk_mul_f16 v3, v3, 0.5 op_sel_hi:[1,0]
	s_waitcnt vmcnt(0)
	v_pk_fma_f16 v7, v2, v4, v3 op_sel:[1,0,0]
	v_pk_mul_f16 v8, v2, v4 op_sel_hi:[0,1]
	v_pk_fma_f16 v10, v2, v4, v3 op_sel:[1,0,0] neg_lo:[1,0,0] neg_hi:[1,0,0]
	v_pk_fma_f16 v2, v2, v4, v3 op_sel:[1,0,0] neg_lo:[0,0,1] neg_hi:[0,0,1]
	v_pk_add_f16 v3, v7, v8 op_sel:[0,1] op_sel_hi:[1,0]
	v_pk_add_f16 v4, v7, v8 op_sel:[0,1] op_sel_hi:[1,0] neg_lo:[0,1] neg_hi:[0,1]
	v_pk_add_f16 v7, v10, v8 op_sel:[0,1] op_sel_hi:[1,0] neg_lo:[0,1] neg_hi:[0,1]
	;; [unrolled: 1-line block ×3, first 2 shown]
	v_bfi_b32 v3, s6, v3, v4
	v_bfi_b32 v2, s6, v7, v2
	ds_write_b32 v16, v3 offset:80
	ds_write_b32 v9, v2 offset:96
.LBB0_23:
	s_or_b64 exec, exec, s[4:5]
	s_waitcnt lgkmcnt(0)
	; wave barrier
	s_waitcnt lgkmcnt(0)
	s_and_saveexec_b64 s[2:3], vcc
	s_cbranch_execz .LBB0_26
; %bb.24:
	v_mov_b32_e32 v2, s13
	v_add_co_u32_e32 v0, vcc, s12, v0
	v_addc_co_u32_e32 v1, vcc, v2, v1, vcc
	ds_read2_b32 v[2:3], v16 offset1:4
	ds_read2_b32 v[7:8], v16 offset0:8 offset1:12
	v_add_co_u32_e32 v4, vcc, v0, v5
	v_addc_co_u32_e32 v5, vcc, v1, v6, vcc
	s_waitcnt lgkmcnt(1)
	global_store_dword v[4:5], v2, off
	ds_read2_b32 v[9:10], v16 offset0:16 offset1:20
	global_store_dword v[4:5], v3, off offset:16
	s_waitcnt lgkmcnt(1)
	global_store_dword v[4:5], v7, off offset:32
	global_store_dword v[4:5], v8, off offset:48
	ds_read2_b32 v[2:3], v16 offset0:24 offset1:28
	ds_read2_b32 v[6:7], v16 offset0:32 offset1:36
	ds_read_b32 v8, v16 offset:160
	s_waitcnt lgkmcnt(3)
	global_store_dword v[4:5], v9, off offset:64
	global_store_dword v[4:5], v10, off offset:80
	s_waitcnt lgkmcnt(2)
	global_store_dword v[4:5], v2, off offset:96
	global_store_dword v[4:5], v3, off offset:112
	s_waitcnt lgkmcnt(1)
	global_store_dword v[4:5], v6, off offset:128
	global_store_dword v[4:5], v7, off offset:144
	s_waitcnt lgkmcnt(0)
	global_store_dword v[4:5], v8, off offset:160
	s_and_b64 exec, exec, s[0:1]
	s_cbranch_execz .LBB0_26
; %bb.25:
	ds_read_b32 v2, v16 offset:164
	s_waitcnt lgkmcnt(0)
	global_store_dword v[0:1], v2, off offset:176
.LBB0_26:
	s_endpgm
	.section	.rodata,"a",@progbits
	.p2align	6, 0x0
	.amdhsa_kernel fft_rtc_fwd_len44_factors_11_4_wgs_64_tpt_4_halfLds_half_ip_CI_unitstride_sbrr_R2C_dirReg
		.amdhsa_group_segment_fixed_size 0
		.amdhsa_private_segment_fixed_size 0
		.amdhsa_kernarg_size 88
		.amdhsa_user_sgpr_count 6
		.amdhsa_user_sgpr_private_segment_buffer 1
		.amdhsa_user_sgpr_dispatch_ptr 0
		.amdhsa_user_sgpr_queue_ptr 0
		.amdhsa_user_sgpr_kernarg_segment_ptr 1
		.amdhsa_user_sgpr_dispatch_id 0
		.amdhsa_user_sgpr_flat_scratch_init 0
		.amdhsa_user_sgpr_private_segment_size 0
		.amdhsa_uses_dynamic_stack 0
		.amdhsa_system_sgpr_private_segment_wavefront_offset 0
		.amdhsa_system_sgpr_workgroup_id_x 1
		.amdhsa_system_sgpr_workgroup_id_y 0
		.amdhsa_system_sgpr_workgroup_id_z 0
		.amdhsa_system_sgpr_workgroup_info 0
		.amdhsa_system_vgpr_workitem_id 0
		.amdhsa_next_free_vgpr 49
		.amdhsa_next_free_sgpr 22
		.amdhsa_reserve_vcc 1
		.amdhsa_reserve_flat_scratch 0
		.amdhsa_float_round_mode_32 0
		.amdhsa_float_round_mode_16_64 0
		.amdhsa_float_denorm_mode_32 3
		.amdhsa_float_denorm_mode_16_64 3
		.amdhsa_dx10_clamp 1
		.amdhsa_ieee_mode 1
		.amdhsa_fp16_overflow 0
		.amdhsa_exception_fp_ieee_invalid_op 0
		.amdhsa_exception_fp_denorm_src 0
		.amdhsa_exception_fp_ieee_div_zero 0
		.amdhsa_exception_fp_ieee_overflow 0
		.amdhsa_exception_fp_ieee_underflow 0
		.amdhsa_exception_fp_ieee_inexact 0
		.amdhsa_exception_int_div_zero 0
	.end_amdhsa_kernel
	.text
.Lfunc_end0:
	.size	fft_rtc_fwd_len44_factors_11_4_wgs_64_tpt_4_halfLds_half_ip_CI_unitstride_sbrr_R2C_dirReg, .Lfunc_end0-fft_rtc_fwd_len44_factors_11_4_wgs_64_tpt_4_halfLds_half_ip_CI_unitstride_sbrr_R2C_dirReg
                                        ; -- End function
	.section	.AMDGPU.csdata,"",@progbits
; Kernel info:
; codeLenInByte = 6108
; NumSgprs: 26
; NumVgprs: 49
; ScratchSize: 0
; MemoryBound: 0
; FloatMode: 240
; IeeeMode: 1
; LDSByteSize: 0 bytes/workgroup (compile time only)
; SGPRBlocks: 3
; VGPRBlocks: 12
; NumSGPRsForWavesPerEU: 26
; NumVGPRsForWavesPerEU: 49
; Occupancy: 4
; WaveLimiterHint : 1
; COMPUTE_PGM_RSRC2:SCRATCH_EN: 0
; COMPUTE_PGM_RSRC2:USER_SGPR: 6
; COMPUTE_PGM_RSRC2:TRAP_HANDLER: 0
; COMPUTE_PGM_RSRC2:TGID_X_EN: 1
; COMPUTE_PGM_RSRC2:TGID_Y_EN: 0
; COMPUTE_PGM_RSRC2:TGID_Z_EN: 0
; COMPUTE_PGM_RSRC2:TIDIG_COMP_CNT: 0
	.type	__hip_cuid_8febfd6ac137736b,@object ; @__hip_cuid_8febfd6ac137736b
	.section	.bss,"aw",@nobits
	.globl	__hip_cuid_8febfd6ac137736b
__hip_cuid_8febfd6ac137736b:
	.byte	0                               ; 0x0
	.size	__hip_cuid_8febfd6ac137736b, 1

	.ident	"AMD clang version 19.0.0git (https://github.com/RadeonOpenCompute/llvm-project roc-6.4.0 25133 c7fe45cf4b819c5991fe208aaa96edf142730f1d)"
	.section	".note.GNU-stack","",@progbits
	.addrsig
	.addrsig_sym __hip_cuid_8febfd6ac137736b
	.amdgpu_metadata
---
amdhsa.kernels:
  - .args:
      - .actual_access:  read_only
        .address_space:  global
        .offset:         0
        .size:           8
        .value_kind:     global_buffer
      - .offset:         8
        .size:           8
        .value_kind:     by_value
      - .actual_access:  read_only
        .address_space:  global
        .offset:         16
        .size:           8
        .value_kind:     global_buffer
      - .actual_access:  read_only
        .address_space:  global
        .offset:         24
        .size:           8
        .value_kind:     global_buffer
      - .offset:         32
        .size:           8
        .value_kind:     by_value
      - .actual_access:  read_only
        .address_space:  global
        .offset:         40
        .size:           8
        .value_kind:     global_buffer
      - .actual_access:  read_only
        .address_space:  global
        .offset:         48
        .size:           8
        .value_kind:     global_buffer
      - .offset:         56
        .size:           4
        .value_kind:     by_value
      - .actual_access:  read_only
        .address_space:  global
        .offset:         64
        .size:           8
        .value_kind:     global_buffer
      - .actual_access:  read_only
        .address_space:  global
        .offset:         72
        .size:           8
        .value_kind:     global_buffer
      - .address_space:  global
        .offset:         80
        .size:           8
        .value_kind:     global_buffer
    .group_segment_fixed_size: 0
    .kernarg_segment_align: 8
    .kernarg_segment_size: 88
    .language:       OpenCL C
    .language_version:
      - 2
      - 0
    .max_flat_workgroup_size: 64
    .name:           fft_rtc_fwd_len44_factors_11_4_wgs_64_tpt_4_halfLds_half_ip_CI_unitstride_sbrr_R2C_dirReg
    .private_segment_fixed_size: 0
    .sgpr_count:     26
    .sgpr_spill_count: 0
    .symbol:         fft_rtc_fwd_len44_factors_11_4_wgs_64_tpt_4_halfLds_half_ip_CI_unitstride_sbrr_R2C_dirReg.kd
    .uniform_work_group_size: 1
    .uses_dynamic_stack: false
    .vgpr_count:     49
    .vgpr_spill_count: 0
    .wavefront_size: 64
amdhsa.target:   amdgcn-amd-amdhsa--gfx906
amdhsa.version:
  - 1
  - 2
...

	.end_amdgpu_metadata
